;; amdgpu-corpus repo=ROCm/rocFFT kind=compiled arch=gfx1100 opt=O3
	.text
	.amdgcn_target "amdgcn-amd-amdhsa--gfx1100"
	.amdhsa_code_object_version 6
	.protected	fft_rtc_fwd_len784_factors_2_2_2_2_7_7_wgs_56_tpt_56_halfLds_half_op_CI_CI_unitstride_sbrr_dirReg ; -- Begin function fft_rtc_fwd_len784_factors_2_2_2_2_7_7_wgs_56_tpt_56_halfLds_half_op_CI_CI_unitstride_sbrr_dirReg
	.globl	fft_rtc_fwd_len784_factors_2_2_2_2_7_7_wgs_56_tpt_56_halfLds_half_op_CI_CI_unitstride_sbrr_dirReg
	.p2align	8
	.type	fft_rtc_fwd_len784_factors_2_2_2_2_7_7_wgs_56_tpt_56_halfLds_half_op_CI_CI_unitstride_sbrr_dirReg,@function
fft_rtc_fwd_len784_factors_2_2_2_2_7_7_wgs_56_tpt_56_halfLds_half_op_CI_CI_unitstride_sbrr_dirReg: ; @fft_rtc_fwd_len784_factors_2_2_2_2_7_7_wgs_56_tpt_56_halfLds_half_op_CI_CI_unitstride_sbrr_dirReg
; %bb.0:
	s_clause 0x2
	s_load_b128 s[8:11], s[0:1], 0x0
	s_load_b128 s[4:7], s[0:1], 0x58
	;; [unrolled: 1-line block ×3, first 2 shown]
	v_mul_u32_u24_e32 v1, 0x493, v0
	v_mov_b32_e32 v7, 0
	v_mov_b32_e32 v5, 0
	;; [unrolled: 1-line block ×3, first 2 shown]
	s_delay_alu instid0(VALU_DEP_4) | instskip(NEXT) | instid1(VALU_DEP_1)
	v_lshrrev_b32_e32 v1, 16, v1
	v_dual_mov_b32 v10, v7 :: v_dual_add_nc_u32 v9, s15, v1
	s_waitcnt lgkmcnt(0)
	v_cmp_lt_u64_e64 s2, s[10:11], 2
	s_delay_alu instid0(VALU_DEP_1)
	s_and_b32 vcc_lo, exec_lo, s2
	s_cbranch_vccnz .LBB0_8
; %bb.1:
	s_load_b64 s[2:3], s[0:1], 0x10
	v_mov_b32_e32 v5, 0
	v_mov_b32_e32 v6, 0
	s_add_u32 s12, s18, 8
	s_addc_u32 s13, s19, 0
	s_add_u32 s14, s16, 8
	s_delay_alu instid0(VALU_DEP_1)
	v_dual_mov_b32 v1, v5 :: v_dual_mov_b32 v2, v6
	s_addc_u32 s15, s17, 0
	s_mov_b64 s[22:23], 1
	s_waitcnt lgkmcnt(0)
	s_add_u32 s20, s2, 8
	s_addc_u32 s21, s3, 0
.LBB0_2:                                ; =>This Inner Loop Header: Depth=1
	s_load_b64 s[24:25], s[20:21], 0x0
                                        ; implicit-def: $vgpr3_vgpr4
	s_mov_b32 s2, exec_lo
	s_waitcnt lgkmcnt(0)
	v_or_b32_e32 v8, s25, v10
	s_delay_alu instid0(VALU_DEP_1)
	v_cmpx_ne_u64_e32 0, v[7:8]
	s_xor_b32 s3, exec_lo, s2
	s_cbranch_execz .LBB0_4
; %bb.3:                                ;   in Loop: Header=BB0_2 Depth=1
	v_cvt_f32_u32_e32 v3, s24
	v_cvt_f32_u32_e32 v4, s25
	s_sub_u32 s2, 0, s24
	s_subb_u32 s26, 0, s25
	s_delay_alu instid0(VALU_DEP_1) | instskip(NEXT) | instid1(VALU_DEP_1)
	v_fmac_f32_e32 v3, 0x4f800000, v4
	v_rcp_f32_e32 v3, v3
	s_waitcnt_depctr 0xfff
	v_mul_f32_e32 v3, 0x5f7ffffc, v3
	s_delay_alu instid0(VALU_DEP_1) | instskip(NEXT) | instid1(VALU_DEP_1)
	v_mul_f32_e32 v4, 0x2f800000, v3
	v_trunc_f32_e32 v4, v4
	s_delay_alu instid0(VALU_DEP_1) | instskip(SKIP_1) | instid1(VALU_DEP_2)
	v_fmac_f32_e32 v3, 0xcf800000, v4
	v_cvt_u32_f32_e32 v4, v4
	v_cvt_u32_f32_e32 v3, v3
	s_delay_alu instid0(VALU_DEP_2) | instskip(NEXT) | instid1(VALU_DEP_2)
	v_mul_lo_u32 v8, s2, v4
	v_mul_hi_u32 v11, s2, v3
	v_mul_lo_u32 v12, s26, v3
	s_delay_alu instid0(VALU_DEP_2) | instskip(SKIP_1) | instid1(VALU_DEP_2)
	v_add_nc_u32_e32 v8, v11, v8
	v_mul_lo_u32 v11, s2, v3
	v_add_nc_u32_e32 v8, v8, v12
	s_delay_alu instid0(VALU_DEP_2) | instskip(NEXT) | instid1(VALU_DEP_2)
	v_mul_hi_u32 v12, v3, v11
	v_mul_lo_u32 v13, v3, v8
	v_mul_hi_u32 v14, v3, v8
	v_mul_hi_u32 v15, v4, v11
	v_mul_lo_u32 v11, v4, v11
	v_mul_hi_u32 v16, v4, v8
	v_mul_lo_u32 v8, v4, v8
	v_add_co_u32 v12, vcc_lo, v12, v13
	v_add_co_ci_u32_e32 v13, vcc_lo, 0, v14, vcc_lo
	s_delay_alu instid0(VALU_DEP_2) | instskip(NEXT) | instid1(VALU_DEP_2)
	v_add_co_u32 v11, vcc_lo, v12, v11
	v_add_co_ci_u32_e32 v11, vcc_lo, v13, v15, vcc_lo
	v_add_co_ci_u32_e32 v12, vcc_lo, 0, v16, vcc_lo
	s_delay_alu instid0(VALU_DEP_2) | instskip(NEXT) | instid1(VALU_DEP_2)
	v_add_co_u32 v8, vcc_lo, v11, v8
	v_add_co_ci_u32_e32 v11, vcc_lo, 0, v12, vcc_lo
	s_delay_alu instid0(VALU_DEP_2) | instskip(NEXT) | instid1(VALU_DEP_2)
	v_add_co_u32 v3, vcc_lo, v3, v8
	v_add_co_ci_u32_e32 v4, vcc_lo, v4, v11, vcc_lo
	s_delay_alu instid0(VALU_DEP_2) | instskip(SKIP_1) | instid1(VALU_DEP_3)
	v_mul_hi_u32 v8, s2, v3
	v_mul_lo_u32 v12, s26, v3
	v_mul_lo_u32 v11, s2, v4
	s_delay_alu instid0(VALU_DEP_1) | instskip(SKIP_1) | instid1(VALU_DEP_2)
	v_add_nc_u32_e32 v8, v8, v11
	v_mul_lo_u32 v11, s2, v3
	v_add_nc_u32_e32 v8, v8, v12
	s_delay_alu instid0(VALU_DEP_2) | instskip(NEXT) | instid1(VALU_DEP_2)
	v_mul_hi_u32 v12, v3, v11
	v_mul_lo_u32 v13, v3, v8
	v_mul_hi_u32 v14, v3, v8
	v_mul_hi_u32 v15, v4, v11
	v_mul_lo_u32 v11, v4, v11
	v_mul_hi_u32 v16, v4, v8
	v_mul_lo_u32 v8, v4, v8
	v_add_co_u32 v12, vcc_lo, v12, v13
	v_add_co_ci_u32_e32 v13, vcc_lo, 0, v14, vcc_lo
	s_delay_alu instid0(VALU_DEP_2) | instskip(NEXT) | instid1(VALU_DEP_2)
	v_add_co_u32 v11, vcc_lo, v12, v11
	v_add_co_ci_u32_e32 v11, vcc_lo, v13, v15, vcc_lo
	v_add_co_ci_u32_e32 v12, vcc_lo, 0, v16, vcc_lo
	s_delay_alu instid0(VALU_DEP_2) | instskip(NEXT) | instid1(VALU_DEP_2)
	v_add_co_u32 v8, vcc_lo, v11, v8
	v_add_co_ci_u32_e32 v11, vcc_lo, 0, v12, vcc_lo
	s_delay_alu instid0(VALU_DEP_2) | instskip(NEXT) | instid1(VALU_DEP_2)
	v_add_co_u32 v8, vcc_lo, v3, v8
	v_add_co_ci_u32_e32 v15, vcc_lo, v4, v11, vcc_lo
	s_delay_alu instid0(VALU_DEP_2) | instskip(SKIP_1) | instid1(VALU_DEP_3)
	v_mul_hi_u32 v16, v9, v8
	v_mad_u64_u32 v[11:12], null, v10, v8, 0
	v_mad_u64_u32 v[3:4], null, v9, v15, 0
	;; [unrolled: 1-line block ×3, first 2 shown]
	s_delay_alu instid0(VALU_DEP_2) | instskip(NEXT) | instid1(VALU_DEP_3)
	v_add_co_u32 v3, vcc_lo, v16, v3
	v_add_co_ci_u32_e32 v4, vcc_lo, 0, v4, vcc_lo
	s_delay_alu instid0(VALU_DEP_2) | instskip(NEXT) | instid1(VALU_DEP_2)
	v_add_co_u32 v3, vcc_lo, v3, v11
	v_add_co_ci_u32_e32 v3, vcc_lo, v4, v12, vcc_lo
	v_add_co_ci_u32_e32 v4, vcc_lo, 0, v14, vcc_lo
	s_delay_alu instid0(VALU_DEP_2) | instskip(NEXT) | instid1(VALU_DEP_2)
	v_add_co_u32 v8, vcc_lo, v3, v13
	v_add_co_ci_u32_e32 v11, vcc_lo, 0, v4, vcc_lo
	s_delay_alu instid0(VALU_DEP_2) | instskip(SKIP_1) | instid1(VALU_DEP_3)
	v_mul_lo_u32 v12, s25, v8
	v_mad_u64_u32 v[3:4], null, s24, v8, 0
	v_mul_lo_u32 v13, s24, v11
	s_delay_alu instid0(VALU_DEP_2) | instskip(NEXT) | instid1(VALU_DEP_2)
	v_sub_co_u32 v3, vcc_lo, v9, v3
	v_add3_u32 v4, v4, v13, v12
	s_delay_alu instid0(VALU_DEP_1) | instskip(NEXT) | instid1(VALU_DEP_1)
	v_sub_nc_u32_e32 v12, v10, v4
	v_subrev_co_ci_u32_e64 v12, s2, s25, v12, vcc_lo
	v_add_co_u32 v13, s2, v8, 2
	s_delay_alu instid0(VALU_DEP_1) | instskip(SKIP_3) | instid1(VALU_DEP_3)
	v_add_co_ci_u32_e64 v14, s2, 0, v11, s2
	v_sub_co_u32 v15, s2, v3, s24
	v_sub_co_ci_u32_e32 v4, vcc_lo, v10, v4, vcc_lo
	v_subrev_co_ci_u32_e64 v12, s2, 0, v12, s2
	v_cmp_le_u32_e32 vcc_lo, s24, v15
	s_delay_alu instid0(VALU_DEP_3) | instskip(SKIP_1) | instid1(VALU_DEP_4)
	v_cmp_eq_u32_e64 s2, s25, v4
	v_cndmask_b32_e64 v15, 0, -1, vcc_lo
	v_cmp_le_u32_e32 vcc_lo, s25, v12
	v_cndmask_b32_e64 v16, 0, -1, vcc_lo
	v_cmp_le_u32_e32 vcc_lo, s24, v3
	;; [unrolled: 2-line block ×3, first 2 shown]
	v_cndmask_b32_e64 v17, 0, -1, vcc_lo
	v_cmp_eq_u32_e32 vcc_lo, s25, v12
	s_delay_alu instid0(VALU_DEP_2) | instskip(SKIP_3) | instid1(VALU_DEP_3)
	v_cndmask_b32_e64 v3, v17, v3, s2
	v_cndmask_b32_e32 v12, v16, v15, vcc_lo
	v_add_co_u32 v15, vcc_lo, v8, 1
	v_add_co_ci_u32_e32 v16, vcc_lo, 0, v11, vcc_lo
	v_cmp_ne_u32_e32 vcc_lo, 0, v12
	s_delay_alu instid0(VALU_DEP_2) | instskip(NEXT) | instid1(VALU_DEP_4)
	v_cndmask_b32_e32 v4, v16, v14, vcc_lo
	v_cndmask_b32_e32 v12, v15, v13, vcc_lo
	v_cmp_ne_u32_e32 vcc_lo, 0, v3
	s_delay_alu instid0(VALU_DEP_3) | instskip(NEXT) | instid1(VALU_DEP_3)
	v_cndmask_b32_e32 v4, v11, v4, vcc_lo
	v_cndmask_b32_e32 v3, v8, v12, vcc_lo
.LBB0_4:                                ;   in Loop: Header=BB0_2 Depth=1
	s_and_not1_saveexec_b32 s2, s3
	s_cbranch_execz .LBB0_6
; %bb.5:                                ;   in Loop: Header=BB0_2 Depth=1
	v_cvt_f32_u32_e32 v3, s24
	s_sub_i32 s3, 0, s24
	s_delay_alu instid0(VALU_DEP_1) | instskip(SKIP_2) | instid1(VALU_DEP_1)
	v_rcp_iflag_f32_e32 v3, v3
	s_waitcnt_depctr 0xfff
	v_mul_f32_e32 v3, 0x4f7ffffe, v3
	v_cvt_u32_f32_e32 v3, v3
	s_delay_alu instid0(VALU_DEP_1) | instskip(NEXT) | instid1(VALU_DEP_1)
	v_mul_lo_u32 v4, s3, v3
	v_mul_hi_u32 v4, v3, v4
	s_delay_alu instid0(VALU_DEP_1) | instskip(NEXT) | instid1(VALU_DEP_1)
	v_add_nc_u32_e32 v3, v3, v4
	v_mul_hi_u32 v3, v9, v3
	s_delay_alu instid0(VALU_DEP_1) | instskip(SKIP_1) | instid1(VALU_DEP_2)
	v_mul_lo_u32 v4, v3, s24
	v_add_nc_u32_e32 v8, 1, v3
	v_sub_nc_u32_e32 v4, v9, v4
	s_delay_alu instid0(VALU_DEP_1) | instskip(SKIP_1) | instid1(VALU_DEP_2)
	v_subrev_nc_u32_e32 v11, s24, v4
	v_cmp_le_u32_e32 vcc_lo, s24, v4
	v_dual_cndmask_b32 v4, v4, v11 :: v_dual_cndmask_b32 v3, v3, v8
	s_delay_alu instid0(VALU_DEP_1) | instskip(NEXT) | instid1(VALU_DEP_2)
	v_cmp_le_u32_e32 vcc_lo, s24, v4
	v_add_nc_u32_e32 v8, 1, v3
	v_mov_b32_e32 v4, v7
	s_delay_alu instid0(VALU_DEP_2)
	v_cndmask_b32_e32 v3, v3, v8, vcc_lo
.LBB0_6:                                ;   in Loop: Header=BB0_2 Depth=1
	s_or_b32 exec_lo, exec_lo, s2
	s_delay_alu instid0(VALU_DEP_2) | instskip(NEXT) | instid1(VALU_DEP_2)
	v_mul_lo_u32 v8, v4, s24
	v_mul_lo_u32 v13, v3, s25
	s_load_b64 s[2:3], s[14:15], 0x0
	v_mad_u64_u32 v[11:12], null, v3, s24, 0
	s_load_b64 s[24:25], s[12:13], 0x0
	s_add_u32 s22, s22, 1
	s_addc_u32 s23, s23, 0
	s_add_u32 s12, s12, 8
	s_addc_u32 s13, s13, 0
	s_add_u32 s14, s14, 8
	s_delay_alu instid0(VALU_DEP_1) | instskip(SKIP_3) | instid1(VALU_DEP_2)
	v_add3_u32 v8, v12, v13, v8
	v_sub_co_u32 v12, vcc_lo, v9, v11
	s_addc_u32 s15, s15, 0
	s_add_u32 s20, s20, 8
	v_sub_co_ci_u32_e32 v10, vcc_lo, v10, v8, vcc_lo
	s_addc_u32 s21, s21, 0
	s_waitcnt lgkmcnt(0)
	s_delay_alu instid0(VALU_DEP_1)
	v_mul_lo_u32 v13, s2, v10
	v_mul_lo_u32 v14, s3, v12
	v_mad_u64_u32 v[8:9], null, s2, v12, v[5:6]
	v_mul_lo_u32 v15, s24, v10
	v_mul_lo_u32 v16, s25, v12
	v_mad_u64_u32 v[10:11], null, s24, v12, v[1:2]
	v_cmp_ge_u64_e64 s2, s[22:23], s[10:11]
	v_add3_u32 v6, v14, v9, v13
	v_mov_b32_e32 v5, v8
	s_delay_alu instid0(VALU_DEP_4)
	v_add3_u32 v2, v16, v11, v15
	v_mov_b32_e32 v1, v10
	s_and_b32 vcc_lo, exec_lo, s2
	s_cbranch_vccnz .LBB0_9
; %bb.7:                                ;   in Loop: Header=BB0_2 Depth=1
	v_dual_mov_b32 v10, v4 :: v_dual_mov_b32 v9, v3
	s_branch .LBB0_2
.LBB0_8:
	v_dual_mov_b32 v1, v5 :: v_dual_mov_b32 v2, v6
	v_dual_mov_b32 v3, v9 :: v_dual_mov_b32 v4, v10
.LBB0_9:
	s_load_b64 s[0:1], s[0:1], 0x28
	v_mul_hi_u32 v28, 0x4924925, v0
	s_lshl_b64 s[10:11], s[10:11], 3
                                        ; implicit-def: $sgpr12
                                        ; implicit-def: $vgpr7
	s_delay_alu instid0(SALU_CYCLE_1) | instskip(SKIP_4) | instid1(VALU_DEP_1)
	s_add_u32 s2, s18, s10
	s_addc_u32 s3, s19, s11
	s_waitcnt lgkmcnt(0)
	v_cmp_gt_u64_e32 vcc_lo, s[0:1], v[3:4]
	v_cmp_le_u64_e64 s0, s[0:1], v[3:4]
	s_and_saveexec_b32 s1, s0
	s_delay_alu instid0(SALU_CYCLE_1)
	s_xor_b32 s0, exec_lo, s1
; %bb.10:
	v_mul_u32_u24_e32 v5, 56, v28
	s_mov_b32 s12, 0
                                        ; implicit-def: $vgpr28
	s_delay_alu instid0(VALU_DEP_1)
	v_sub_nc_u32_e32 v7, v0, v5
                                        ; implicit-def: $vgpr0
                                        ; implicit-def: $vgpr5_vgpr6
; %bb.11:
	s_or_saveexec_b32 s1, s0
	v_dual_mov_b32 v12, s12 :: v_dual_mov_b32 v23, s12
	v_dual_mov_b32 v20, s12 :: v_dual_mov_b32 v17, s12
	;; [unrolled: 1-line block ×3, first 2 shown]
	v_mov_b32_e32 v8, s12
                                        ; implicit-def: $vgpr29
                                        ; implicit-def: $vgpr18
                                        ; implicit-def: $vgpr27
                                        ; implicit-def: $vgpr19
                                        ; implicit-def: $vgpr26
                                        ; implicit-def: $vgpr15
                                        ; implicit-def: $vgpr25
                                        ; implicit-def: $vgpr16
                                        ; implicit-def: $vgpr24
                                        ; implicit-def: $vgpr14
                                        ; implicit-def: $vgpr21
                                        ; implicit-def: $vgpr11
                                        ; implicit-def: $vgpr22
                                        ; implicit-def: $vgpr13
	s_xor_b32 exec_lo, exec_lo, s1
	s_cbranch_execz .LBB0_13
; %bb.12:
	s_add_u32 s10, s16, s10
	s_addc_u32 s11, s17, s11
	v_lshlrev_b64 v[5:6], 2, v[5:6]
	s_load_b64 s[10:11], s[10:11], 0x0
	s_waitcnt lgkmcnt(0)
	v_mul_lo_u32 v9, s11, v3
	v_mul_lo_u32 v10, s10, v4
	v_mad_u64_u32 v[7:8], null, s10, v3, 0
	s_delay_alu instid0(VALU_DEP_1) | instskip(SKIP_1) | instid1(VALU_DEP_2)
	v_add3_u32 v8, v8, v10, v9
	v_mul_u32_u24_e32 v10, 56, v28
	v_lshlrev_b64 v[8:9], 2, v[7:8]
	s_delay_alu instid0(VALU_DEP_2) | instskip(NEXT) | instid1(VALU_DEP_2)
	v_sub_nc_u32_e32 v7, v0, v10
	v_add_co_u32 v0, s0, s4, v8
	s_delay_alu instid0(VALU_DEP_1) | instskip(NEXT) | instid1(VALU_DEP_3)
	v_add_co_ci_u32_e64 v8, s0, s5, v9, s0
	v_lshlrev_b32_e32 v9, 2, v7
	s_delay_alu instid0(VALU_DEP_3) | instskip(NEXT) | instid1(VALU_DEP_1)
	v_add_co_u32 v0, s0, v0, v5
	v_add_co_ci_u32_e64 v6, s0, v8, v6, s0
	s_delay_alu instid0(VALU_DEP_2) | instskip(NEXT) | instid1(VALU_DEP_1)
	v_add_co_u32 v5, s0, v0, v9
	v_add_co_ci_u32_e64 v6, s0, 0, v6, s0
	s_clause 0xd
	global_load_b32 v18, v[5:6], off offset:1568
	global_load_b32 v19, v[5:6], off offset:1792
	;; [unrolled: 1-line block ×7, first 2 shown]
	global_load_b32 v12, v[5:6], off
	global_load_b32 v23, v[5:6], off offset:224
	global_load_b32 v20, v[5:6], off offset:448
	;; [unrolled: 1-line block ×6, first 2 shown]
	s_waitcnt vmcnt(13)
	v_lshrrev_b32_e32 v29, 16, v18
	s_waitcnt vmcnt(12)
	v_lshrrev_b32_e32 v27, 16, v19
	;; [unrolled: 2-line block ×7, first 2 shown]
.LBB0_13:
	s_or_b32 exec_lo, exec_lo, s1
	s_waitcnt vmcnt(5)
	v_lshrrev_b32_e32 v5, 16, v23
	v_lshrrev_b32_e32 v0, 16, v12
	s_waitcnt vmcnt(4)
	v_lshrrev_b32_e32 v6, 16, v20
	v_sub_f16_e32 v18, v12, v18
	s_waitcnt vmcnt(3)
	v_sub_f16_e32 v16, v17, v16
	v_sub_f16_e32 v27, v5, v27
	;; [unrolled: 1-line block ×5, first 2 shown]
	s_waitcnt vmcnt(2)
	v_sub_f16_e32 v14, v10, v14
	v_fma_f16 v30, v5, 2.0, -v27
	v_lshrrev_b32_e32 v5, 16, v10
	v_fma_f16 v29, v0, 2.0, -v28
	v_sub_f16_e32 v0, v20, v15
	v_fma_f16 v12, v12, 2.0, -v18
	v_lshrrev_b32_e32 v15, 16, v17
	v_sub_f16_e32 v24, v5, v24
	v_fma_f16 v31, v6, 2.0, -v26
	v_fma_f16 v17, v17, 2.0, -v16
	s_waitcnt vmcnt(1)
	v_lshrrev_b32_e32 v6, 16, v8
	s_waitcnt vmcnt(0)
	v_lshrrev_b32_e32 v32, 16, v9
	v_sub_f16_e32 v11, v8, v11
	v_sub_f16_e32 v13, v9, v13
	v_fma_f16 v23, v23, 2.0, -v19
	v_fma_f16 v33, v5, 2.0, -v24
	v_add_nc_u32_e32 v5, 56, v7
	v_fma_f16 v20, v20, 2.0, -v0
	v_add_nc_u32_e32 v36, 0x70, v7
	v_add_nc_u32_e32 v37, 0xa8, v7
	v_fma_f16 v10, v10, 2.0, -v14
	v_add_nc_u32_e32 v38, 0xe0, v7
	v_sub_f16_e32 v25, v15, v25
	v_sub_f16_e32 v21, v6, v21
	;; [unrolled: 1-line block ×3, first 2 shown]
	v_fma_f16 v8, v8, 2.0, -v11
	v_fma_f16 v9, v9, 2.0, -v13
	v_lshl_add_u32 v35, v7, 2, 0
	v_pack_b32_f16 v12, v12, v18
	v_add_nc_u32_e32 v40, 0x118, v7
	v_pack_b32_f16 v16, v17, v16
	v_add_nc_u32_e32 v17, 0x150, v7
	v_lshl_add_u32 v18, v5, 2, 0
	v_pack_b32_f16 v19, v23, v19
	v_lshl_add_u32 v23, v36, 2, 0
	v_pack_b32_f16 v20, v20, v0
	v_lshl_add_u32 v39, v37, 2, 0
	v_lshl_add_u32 v41, v38, 2, 0
	v_pack_b32_f16 v10, v10, v14
	s_load_b64 s[0:1], s[2:3], 0x0
	v_fma_f16 v15, v15, 2.0, -v25
	v_fma_f16 v34, v6, 2.0, -v21
	;; [unrolled: 1-line block ×3, first 2 shown]
	v_lshlrev_b32_e32 v6, 1, v7
	v_lshl_add_u32 v14, v40, 2, 0
	v_pack_b32_f16 v8, v8, v11
	v_lshl_add_u32 v11, v17, 2, 0
	v_pack_b32_f16 v9, v9, v13
	ds_store_b32 v35, v12
	ds_store_b32 v18, v19
	;; [unrolled: 1-line block ×7, first 2 shown]
	v_pack_b32_f16 v10, v31, v26
	v_and_b32_e32 v26, 1, v7
	v_sub_nc_u32_e32 v0, v35, v6
	v_pack_b32_f16 v8, v29, v28
	v_pack_b32_f16 v12, v15, v25
	;; [unrolled: 1-line block ×4, first 2 shown]
	v_lshlrev_b32_e32 v22, 2, v26
	v_pack_b32_f16 v9, v30, v27
	v_pack_b32_f16 v13, v33, v24
	s_waitcnt lgkmcnt(0)
	s_barrier
	buffer_gl0_inv
	ds_load_u16 v16, v0
	ds_load_u16 v19, v0 offset:112
	ds_load_u16 v20, v0 offset:224
	;; [unrolled: 1-line block ×13, first 2 shown]
	s_waitcnt lgkmcnt(0)
	s_barrier
	buffer_gl0_inv
	ds_store_b32 v35, v8
	ds_store_b32 v18, v9
	;; [unrolled: 1-line block ×7, first 2 shown]
	s_waitcnt lgkmcnt(0)
	s_barrier
	buffer_gl0_inv
	global_load_b32 v14, v22, s[8:9]
	ds_load_u16 v27, v0 offset:784
	ds_load_u16 v28, v0 offset:896
	v_lshlrev_b32_e32 v9, 1, v36
	v_lshlrev_b32_e32 v10, 1, v37
	;; [unrolled: 1-line block ×3, first 2 shown]
	ds_load_u16 v29, v0 offset:1008
	ds_load_u16 v30, v0 offset:1120
	;; [unrolled: 1-line block ×5, first 2 shown]
	ds_load_u16 v34, v0
	ds_load_u16 v35, v0 offset:112
	ds_load_u16 v36, v0 offset:224
	;; [unrolled: 1-line block ×5, first 2 shown]
	v_lshlrev_b32_e32 v12, 1, v40
	ds_load_u16 v41, v0 offset:672
	v_lshlrev_b32_e32 v8, 1, v5
	v_and_b32_e32 v15, 3, v7
	v_and_or_b32 v18, 0x7c, v6, v26
	v_lshlrev_b32_e32 v13, 1, v17
	v_and_or_b32 v22, 0x1fc, v9, v26
	v_and_or_b32 v21, 0xfc, v8, v26
	v_lshlrev_b32_e32 v17, 2, v15
	v_lshl_add_u32 v18, v18, 1, 0
	v_and_or_b32 v23, 0x1fc, v10, v26
	v_and_or_b32 v24, 0x3fc, v11, v26
	;; [unrolled: 1-line block ×4, first 2 shown]
	v_lshl_add_u32 v21, v21, 1, 0
	v_lshl_add_u32 v22, v22, 1, 0
	;; [unrolled: 1-line block ×6, first 2 shown]
	s_waitcnt vmcnt(0) lgkmcnt(0)
	s_barrier
	buffer_gl0_inv
	v_lshrrev_b32_e32 v40, 16, v14
	s_delay_alu instid0(VALU_DEP_1)
	v_mul_f16_e32 v53, v27, v40
	v_mul_f16_e32 v54, v45, v40
	;; [unrolled: 1-line block ×14, first 2 shown]
	v_fma_f16 v45, v45, v14, -v53
	v_fmac_f16_e32 v54, v27, v14
	v_fma_f16 v27, v47, v14, -v55
	v_fmac_f16_e32 v56, v28, v14
	;; [unrolled: 2-line block ×7, first 2 shown]
	v_sub_f16_e32 v14, v16, v45
	v_sub_f16_e32 v33, v34, v54
	v_sub_f16_e32 v27, v19, v27
	v_sub_f16_e32 v45, v35, v56
	v_sub_f16_e32 v28, v20, v28
	v_sub_f16_e32 v47, v36, v58
	v_sub_f16_e32 v29, v42, v29
	v_sub_f16_e32 v30, v43, v30
	v_sub_f16_e32 v31, v44, v31
	v_sub_f16_e32 v32, v46, v32
	v_sub_f16_e32 v48, v37, v60
	v_sub_f16_e32 v49, v38, v62
	v_sub_f16_e32 v50, v39, v64
	v_sub_f16_e32 v40, v41, v40
	v_fma_f16 v16, v16, 2.0, -v14
	v_fma_f16 v34, v34, 2.0, -v33
	;; [unrolled: 1-line block ×14, first 2 shown]
	ds_store_b16 v18, v16
	ds_store_b16 v18, v14 offset:4
	ds_store_b16 v21, v19
	ds_store_b16 v21, v27 offset:4
	ds_store_b16 v22, v20
	ds_store_b16 v22, v28 offset:4
	ds_store_b16 v23, v42
	ds_store_b16 v23, v29 offset:4
	ds_store_b16 v24, v43
	ds_store_b16 v24, v30 offset:4
	ds_store_b16 v25, v44
	ds_store_b16 v25, v31 offset:4
	ds_store_b16 v26, v46
	ds_store_b16 v26, v32 offset:4
	s_waitcnt lgkmcnt(0)
	s_barrier
	buffer_gl0_inv
	ds_load_u16 v14, v0
	ds_load_u16 v16, v0 offset:112
	ds_load_u16 v19, v0 offset:224
	;; [unrolled: 1-line block ×13, first 2 shown]
	s_waitcnt lgkmcnt(0)
	s_barrier
	buffer_gl0_inv
	ds_store_b16 v18, v34
	ds_store_b16 v18, v33 offset:4
	ds_store_b16 v21, v35
	ds_store_b16 v21, v45 offset:4
	;; [unrolled: 2-line block ×7, first 2 shown]
	s_waitcnt lgkmcnt(0)
	s_barrier
	buffer_gl0_inv
	global_load_b32 v17, v17, s[8:9] offset:8
	ds_load_u16 v34, v0 offset:784
	ds_load_u16 v35, v0 offset:896
	;; [unrolled: 1-line block ×7, first 2 shown]
	ds_load_u16 v41, v0
	ds_load_u16 v45, v0 offset:112
	ds_load_u16 v47, v0 offset:224
	;; [unrolled: 1-line block ×6, first 2 shown]
	v_and_b32_e32 v18, 7, v7
	v_and_or_b32 v21, 0x78, v6, v15
	v_and_or_b32 v23, 0xf8, v8, v15
	;; [unrolled: 1-line block ×7, first 2 shown]
	v_lshlrev_b32_e32 v22, 2, v18
	v_lshl_add_u32 v21, v21, 1, 0
	v_lshl_add_u32 v23, v23, 1, 0
	;; [unrolled: 1-line block ×7, first 2 shown]
	s_waitcnt vmcnt(0) lgkmcnt(0)
	s_barrier
	buffer_gl0_inv
	v_and_or_b32 v6, 0x70, v6, v18
	v_and_or_b32 v8, 0xf0, v8, v18
	;; [unrolled: 1-line block ×5, first 2 shown]
	v_lshl_add_u32 v6, v6, 1, 0
	v_and_or_b32 v12, 0x2f0, v12, v18
	v_and_or_b32 v13, 0x3f0, v13, v18
	v_lshl_add_u32 v8, v8, 1, 0
	v_lshl_add_u32 v9, v9, 1, 0
	;; [unrolled: 1-line block ×6, first 2 shown]
	v_lshrrev_b32_e32 v51, 16, v17
	s_delay_alu instid0(VALU_DEP_1)
	v_mul_f16_e32 v53, v34, v51
	v_mul_f16_e32 v54, v29, v51
	;; [unrolled: 1-line block ×14, first 2 shown]
	v_fma_f16 v29, v29, v17, -v53
	v_fmac_f16_e32 v54, v34, v17
	v_fma_f16 v31, v31, v17, -v55
	v_fmac_f16_e32 v56, v35, v17
	;; [unrolled: 2-line block ×4, first 2 shown]
	v_fma_f16 v35, v43, v17, -v61
	v_fma_f16 v36, v44, v17, -v63
	;; [unrolled: 1-line block ×3, first 2 shown]
	v_fmac_f16_e32 v62, v38, v17
	v_fmac_f16_e32 v64, v39, v17
	;; [unrolled: 1-line block ×3, first 2 shown]
	v_sub_f16_e32 v17, v14, v29
	v_sub_f16_e32 v29, v41, v54
	;; [unrolled: 1-line block ×14, first 2 shown]
	v_fma_f16 v14, v14, 2.0, -v17
	v_fma_f16 v41, v41, 2.0, -v29
	;; [unrolled: 1-line block ×14, first 2 shown]
	ds_store_b16 v21, v14
	ds_store_b16 v21, v17 offset:8
	ds_store_b16 v23, v16
	ds_store_b16 v23, v31 offset:8
	;; [unrolled: 2-line block ×7, first 2 shown]
	s_waitcnt lgkmcnt(0)
	s_barrier
	buffer_gl0_inv
	ds_load_u16 v14, v0
	ds_load_u16 v16, v0 offset:112
	ds_load_u16 v17, v0 offset:224
	ds_load_u16 v19, v0 offset:336
	ds_load_u16 v20, v0 offset:448
	ds_load_u16 v27, v0 offset:560
	ds_load_u16 v28, v0 offset:784
	ds_load_u16 v30, v0 offset:672
	ds_load_u16 v31, v0 offset:896
	ds_load_u16 v32, v0 offset:1008
	ds_load_u16 v34, v0 offset:1120
	ds_load_u16 v35, v0 offset:1232
	ds_load_u16 v36, v0 offset:1344
	ds_load_u16 v37, v0 offset:1456
	s_waitcnt lgkmcnt(0)
	s_barrier
	buffer_gl0_inv
	ds_store_b16 v21, v41
	ds_store_b16 v21, v29 offset:8
	ds_store_b16 v23, v45
	ds_store_b16 v23, v38 offset:8
	;; [unrolled: 2-line block ×7, first 2 shown]
	s_waitcnt lgkmcnt(0)
	s_barrier
	buffer_gl0_inv
	global_load_b32 v15, v22, s[8:9] offset:24
	ds_load_u16 v24, v0 offset:784
	ds_load_u16 v25, v0 offset:896
	;; [unrolled: 1-line block ×7, first 2 shown]
	ds_load_u16 v40, v0
	ds_load_u16 v41, v0 offset:112
	ds_load_u16 v42, v0 offset:224
	;; [unrolled: 1-line block ×6, first 2 shown]
	v_and_b32_e32 v21, 15, v7
	v_and_b32_e32 v23, 15, v5
	s_waitcnt vmcnt(0) lgkmcnt(0)
	s_barrier
	buffer_gl0_inv
	v_mul_u32_u24_e32 v22, 6, v21
	s_delay_alu instid0(VALU_DEP_1) | instskip(SKIP_2) | instid1(VALU_DEP_1)
	v_lshlrev_b32_e32 v18, 2, v22
	v_mul_u32_u24_e32 v22, 6, v23
	v_lshrrev_b32_e32 v46, 16, v15
	v_mul_f16_e32 v48, v24, v46
	v_mul_f16_e32 v49, v28, v46
	;; [unrolled: 1-line block ×14, first 2 shown]
	v_fma_f16 v28, v28, v15, -v48
	v_fmac_f16_e32 v49, v24, v15
	v_fma_f16 v24, v31, v15, -v50
	v_fmac_f16_e32 v51, v25, v15
	;; [unrolled: 2-line block ×3, first 2 shown]
	v_fmac_f16_e32 v55, v29, v15
	v_fma_f16 v29, v35, v15, -v56
	v_fma_f16 v31, v36, v15, -v58
	;; [unrolled: 1-line block ×4, first 2 shown]
	v_fmac_f16_e32 v57, v33, v15
	v_fmac_f16_e32 v59, v38, v15
	;; [unrolled: 1-line block ×3, first 2 shown]
	v_sub_f16_e32 v15, v14, v28
	v_sub_f16_e32 v28, v40, v49
	;; [unrolled: 1-line block ×14, first 2 shown]
	v_fma_f16 v14, v14, 2.0, -v15
	v_fma_f16 v39, v40, 2.0, -v28
	;; [unrolled: 1-line block ×14, first 2 shown]
	ds_store_b16 v6, v14
	ds_store_b16 v6, v15 offset:16
	ds_store_b16 v8, v16
	ds_store_b16 v8, v24 offset:16
	;; [unrolled: 2-line block ×7, first 2 shown]
	s_waitcnt lgkmcnt(0)
	s_barrier
	buffer_gl0_inv
	ds_load_u16 v20, v0
	ds_load_u16 v24, v0 offset:896
	ds_load_u16 v25, v0 offset:784
	ds_load_u16 v26, v0 offset:672
	ds_load_u16 v27, v0 offset:560
	ds_load_u16 v29, v0 offset:448
	ds_load_u16 v30, v0 offset:336
	ds_load_u16 v31, v0 offset:224
	ds_load_u16 v32, v0 offset:112
	ds_load_u16 v46, v0 offset:1456
	ds_load_u16 v47, v0 offset:1344
	ds_load_u16 v48, v0 offset:1232
	ds_load_u16 v49, v0 offset:1120
	ds_load_u16 v50, v0 offset:1008
	s_waitcnt lgkmcnt(0)
	s_barrier
	buffer_gl0_inv
	ds_store_b16 v6, v39
	ds_store_b16 v6, v28 offset:16
	ds_store_b16 v8, v40
	ds_store_b16 v8, v33 offset:16
	;; [unrolled: 2-line block ×7, first 2 shown]
	v_lshlrev_b32_e32 v6, 2, v22
	s_waitcnt lgkmcnt(0)
	s_barrier
	buffer_gl0_inv
	s_clause 0x3
	global_load_b128 v[8:11], v18, s[8:9] offset:56
	global_load_b64 v[16:17], v18, s[8:9] offset:72
	global_load_b128 v[12:15], v6, s[8:9] offset:56
	global_load_b64 v[18:19], v6, s[8:9] offset:72
	v_lshrrev_b32_e32 v6, 4, v7
	v_lshrrev_b32_e32 v22, 4, v5
	s_delay_alu instid0(VALU_DEP_2) | instskip(NEXT) | instid1(VALU_DEP_2)
	v_mul_u32_u24_e32 v6, 0x70, v6
	v_mul_u32_u24_e32 v22, 0x70, v22
	s_delay_alu instid0(VALU_DEP_2) | instskip(NEXT) | instid1(VALU_DEP_2)
	v_or_b32_e32 v6, v6, v21
	v_or_b32_e32 v21, v22, v23
	s_delay_alu instid0(VALU_DEP_2)
	v_lshl_add_u32 v22, v6, 1, 0
	ds_load_u16 v6, v0
	ds_load_u16 v23, v0 offset:896
	ds_load_u16 v28, v0 offset:784
	;; [unrolled: 1-line block ×13, first 2 shown]
	v_lshl_add_u32 v21, v21, 1, 0
	s_waitcnt vmcnt(0) lgkmcnt(0)
	s_barrier
	buffer_gl0_inv
	v_lshrrev_b32_e32 v53, 16, v16
	v_lshrrev_b32_e32 v44, 16, v8
	;; [unrolled: 1-line block ×12, first 2 shown]
	v_mul_f16_e32 v61, v37, v44
	v_mul_f16_e32 v44, v31, v44
	;; [unrolled: 1-line block ×24, first 2 shown]
	v_fma_f16 v31, v31, v8, -v61
	v_fmac_f16_e32 v44, v37, v8
	v_fma_f16 v8, v29, v9, -v62
	v_fmac_f16_e32 v45, v35, v9
	;; [unrolled: 2-line block ×12, first 2 shown]
	v_add_f16_e32 v19, v31, v16
	v_add_f16_e32 v25, v8, v11
	;; [unrolled: 1-line block ×3, first 2 shown]
	v_sub_f16_e32 v16, v31, v16
	v_sub_f16_e32 v24, v44, v54
	v_add_f16_e32 v26, v45, v53
	v_sub_f16_e32 v8, v8, v11
	v_sub_f16_e32 v11, v45, v53
	v_add_f16_e32 v27, v9, v10
	v_add_f16_e32 v28, v51, v52
	v_sub_f16_e32 v9, v10, v9
	v_sub_f16_e32 v10, v52, v51
	v_add_f16_e32 v29, v17, v18
	v_add_f16_e32 v30, v55, v60
	;; [unrolled: 1-line block ×5, first 2 shown]
	v_sub_f16_e32 v17, v17, v18
	v_sub_f16_e32 v18, v55, v60
	;; [unrolled: 1-line block ×4, first 2 shown]
	v_add_f16_e32 v34, v13, v14
	v_sub_f16_e32 v13, v14, v13
	v_sub_f16_e32 v14, v58, v57
	v_add_f16_e32 v35, v57, v58
	v_add_f16_e32 v37, v26, v23
	v_sub_f16_e32 v39, v25, v19
	v_sub_f16_e32 v40, v26, v23
	v_sub_f16_e32 v19, v19, v27
	v_sub_f16_e32 v23, v23, v28
	v_sub_f16_e32 v25, v27, v25
	v_sub_f16_e32 v26, v28, v26
	v_add_f16_e32 v41, v9, v8
	v_add_f16_e32 v42, v10, v11
	v_sub_f16_e32 v43, v9, v8
	v_sub_f16_e32 v44, v10, v11
	;; [unrolled: 1-line block ×4, first 2 shown]
	v_add_f16_e32 v45, v31, v29
	v_add_f16_e32 v46, v33, v30
	v_add_f16_e32 v27, v27, v36
	v_add_f16_e32 v50, v14, v15
	v_sub_f16_e32 v52, v14, v15
	v_sub_f16_e32 v15, v15, v18
	;; [unrolled: 1-line block ×10, first 2 shown]
	v_add_f16_e32 v49, v13, v12
	v_sub_f16_e32 v51, v13, v12
	v_sub_f16_e32 v12, v12, v17
	v_add_f16_e32 v28, v28, v37
	v_add_f16_e32 v16, v41, v16
	;; [unrolled: 1-line block ×3, first 2 shown]
	v_mul_f16_e32 v19, 0x3a52, v19
	v_mul_f16_e32 v23, 0x3a52, v23
	;; [unrolled: 1-line block ×8, first 2 shown]
	v_add_f16_e32 v34, v34, v45
	v_add_f16_e32 v35, v35, v46
	;; [unrolled: 1-line block ×3, first 2 shown]
	v_sub_f16_e32 v14, v18, v14
	v_add_f16_e32 v18, v50, v18
	v_mul_f16_e32 v50, 0xb846, v52
	v_mul_f16_e32 v52, 0x3b00, v15
	v_sub_f16_e32 v13, v17, v13
	v_add_f16_e32 v17, v49, v17
	v_mul_f16_e32 v29, 0x3a52, v29
	v_mul_f16_e32 v30, 0x3a52, v30
	;; [unrolled: 1-line block ×6, first 2 shown]
	v_add_f16_e32 v53, v6, v28
	v_fmamk_f16 v6, v25, 0x2b26, v19
	v_fmamk_f16 v25, v26, 0x2b26, v23
	v_fma_f16 v26, v39, 0x39e0, -v36
	v_fma_f16 v36, v40, 0x39e0, -v37
	;; [unrolled: 1-line block ×3, first 2 shown]
	v_fmamk_f16 v37, v9, 0x3574, v41
	v_fmamk_f16 v39, v10, 0x3574, v42
	v_fma_f16 v8, v8, 0x3b00, -v41
	v_fma_f16 v11, v11, 0x3b00, -v42
	;; [unrolled: 1-line block ×4, first 2 shown]
	v_add_f16_e32 v32, v32, v34
	v_add_f16_e32 v38, v38, v35
	v_fmamk_f16 v27, v27, 0xbcab, v20
	v_fmamk_f16 v43, v14, 0x3574, v50
	v_fma_f16 v15, v15, 0x3b00, -v50
	v_fma_f16 v14, v14, 0xb574, -v52
	;; [unrolled: 1-line block ×3, first 2 shown]
	v_fmamk_f16 v31, v31, 0x2b26, v29
	v_fmamk_f16 v33, v33, 0x2b26, v30
	v_fma_f16 v40, v47, 0x39e0, -v45
	v_fma_f16 v41, v48, 0x39e0, -v46
	;; [unrolled: 1-line block ×4, first 2 shown]
	v_fmamk_f16 v42, v13, 0x3574, v49
	v_fma_f16 v12, v12, 0x3b00, -v49
	v_fma_f16 v13, v13, 0xb574, -v51
	v_fmamk_f16 v28, v28, 0xbcab, v53
	v_fmac_f16_e32 v37, 0x370e, v16
	v_fmac_f16_e32 v39, 0x370e, v24
	;; [unrolled: 1-line block ×6, first 2 shown]
	v_fmamk_f16 v16, v34, 0xbcab, v32
	v_fmamk_f16 v24, v35, 0xbcab, v38
	v_add_f16_e32 v6, v6, v27
	v_add_f16_e32 v19, v19, v27
	v_fmac_f16_e32 v43, 0x370e, v18
	v_fmac_f16_e32 v15, 0x370e, v18
	;; [unrolled: 1-line block ×3, first 2 shown]
	v_add_f16_e32 v18, v26, v27
	v_fmac_f16_e32 v42, 0x370e, v17
	v_fmac_f16_e32 v12, 0x370e, v17
	;; [unrolled: 1-line block ×3, first 2 shown]
	v_add_f16_e32 v17, v25, v28
	v_add_f16_e32 v25, v36, v28
	;; [unrolled: 1-line block ×11, first 2 shown]
	v_sub_f16_e32 v35, v18, v11
	v_sub_f16_e32 v30, v17, v37
	;; [unrolled: 1-line block ×3, first 2 shown]
	v_add_f16_e32 v36, v8, v25
	v_add_f16_e32 v11, v11, v18
	v_sub_f16_e32 v25, v25, v8
	v_sub_f16_e32 v8, v19, v10
	v_add_f16_e32 v23, v9, v23
	v_sub_f16_e32 v6, v6, v39
	v_add_f16_e32 v37, v37, v17
	v_add_f16_e32 v9, v43, v26
	v_add_f16_e32 v10, v14, v16
	v_sub_f16_e32 v40, v24, v13
	v_sub_f16_e32 v17, v28, v15
	v_add_f16_e32 v41, v12, v31
	v_add_f16_e32 v15, v15, v28
	v_sub_f16_e32 v28, v31, v12
	v_sub_f16_e32 v12, v16, v14
	v_add_f16_e32 v24, v13, v24
	v_sub_f16_e32 v13, v26, v43
	ds_store_b16 v22, v20
	ds_store_b16 v22, v29 offset:32
	ds_store_b16 v22, v33 offset:64
	;; [unrolled: 1-line block ×6, first 2 shown]
	ds_store_b16 v21, v32
	ds_store_b16 v21, v9 offset:32
	ds_store_b16 v21, v10 offset:64
	;; [unrolled: 1-line block ×6, first 2 shown]
	s_waitcnt lgkmcnt(0)
	s_barrier
	buffer_gl0_inv
	ds_load_u16 v6, v0
	ds_load_u16 v9, v0 offset:896
	ds_load_u16 v14, v0 offset:784
	;; [unrolled: 1-line block ×13, first 2 shown]
	v_sub_f16_e32 v39, v27, v42
	v_add_f16_e32 v26, v42, v27
	s_waitcnt lgkmcnt(0)
	s_barrier
	buffer_gl0_inv
	ds_store_b16 v22, v53
	ds_store_b16 v22, v30 offset:32
	ds_store_b16 v22, v34 offset:64
	;; [unrolled: 1-line block ×6, first 2 shown]
	ds_store_b16 v21, v38
	ds_store_b16 v21, v39 offset:32
	ds_store_b16 v21, v40 offset:64
	;; [unrolled: 1-line block ×6, first 2 shown]
	s_waitcnt lgkmcnt(0)
	s_barrier
	buffer_gl0_inv
	s_and_saveexec_b32 s2, vcc_lo
	s_cbranch_execz .LBB0_15
; %bb.14:
	v_mul_u32_u24_e32 v5, 6, v5
	v_mul_u32_u24_e32 v25, 6, v7
	v_add_nc_u32_e32 v33, 56, v7
	v_mul_lo_u32 v34, s1, v3
	v_mul_lo_u32 v35, s0, v4
	v_lshlrev_b32_e32 v5, 2, v5
	v_lshrrev_b32_e32 v36, 4, v7
	s_clause 0x1
	global_load_b128 v[21:24], v5, s[8:9] offset:440
	global_load_b64 v[29:30], v5, s[8:9] offset:456
	v_lshlrev_b32_e32 v5, 2, v25
	s_clause 0x1
	global_load_b128 v[25:28], v5, s[8:9] offset:440
	global_load_b64 v[31:32], v5, s[8:9] offset:456
	v_mad_u64_u32 v[4:5], null, s0, v3, 0
	v_lshrrev_b32_e32 v3, 4, v33
	ds_load_u16 v44, v0 offset:784
	ds_load_u16 v45, v0 offset:672
	ds_load_u16 v46, v0 offset:560
	ds_load_u16 v47, v0 offset:448
	ds_load_u16 v48, v0 offset:336
	ds_load_u16 v49, v0 offset:224
	ds_load_u16 v50, v0 offset:1456
	ds_load_u16 v51, v0 offset:1344
	ds_load_u16 v52, v0 offset:1232
	ds_load_u16 v53, v0 offset:1120
	v_mul_hi_u32 v37, 0x24924925, v3
	v_mul_hi_u32 v3, 0x24924925, v36
	v_add3_u32 v5, v5, v35, v34
	ds_load_u16 v54, v0 offset:1008
	ds_load_u16 v55, v0 offset:896
	;; [unrolled: 1-line block ×3, first 2 shown]
	ds_load_u16 v57, v0
	v_lshlrev_b64 v[0:1], 2, v[1:2]
	v_mul_lo_u32 v36, 0x70, v37
	v_mul_lo_u32 v38, 0x70, v3
	v_lshlrev_b64 v[3:4], 2, v[4:5]
	s_delay_alu instid0(VALU_DEP_3) | instskip(NEXT) | instid1(VALU_DEP_3)
	v_sub_nc_u32_e32 v2, v33, v36
	v_sub_nc_u32_e32 v7, v7, v38
	s_delay_alu instid0(VALU_DEP_2)
	v_mad_u64_u32 v[33:34], null, 0x310, v37, v[2:3]
	v_mov_b32_e32 v5, 0
	v_add_co_u32 v2, vcc_lo, s6, v3
	v_add_co_ci_u32_e32 v3, vcc_lo, s7, v4, vcc_lo
	v_lshlrev_b32_e32 v7, 2, v7
	v_add_nc_u32_e32 v4, 0x70, v33
	v_mov_b32_e32 v34, v5
	v_add_co_u32 v58, vcc_lo, v2, v0
	v_add_co_ci_u32_e32 v59, vcc_lo, v3, v1, vcc_lo
	s_delay_alu instid0(VALU_DEP_3) | instskip(SKIP_4) | instid1(VALU_DEP_3)
	v_lshlrev_b64 v[0:1], 2, v[33:34]
	v_lshlrev_b64 v[34:35], 2, v[4:5]
	v_add_nc_u32_e32 v4, 0xe0, v33
	v_add_co_u32 v2, vcc_lo, v58, v7
	v_add_co_ci_u32_e32 v3, vcc_lo, 0, v59, vcc_lo
	v_lshlrev_b64 v[36:37], 2, v[4:5]
	v_add_nc_u32_e32 v4, 0x150, v33
	v_add_co_u32 v0, vcc_lo, v58, v0
	v_add_co_ci_u32_e32 v1, vcc_lo, v59, v1, vcc_lo
	s_delay_alu instid0(VALU_DEP_3) | instskip(SKIP_3) | instid1(VALU_DEP_3)
	v_lshlrev_b64 v[38:39], 2, v[4:5]
	v_add_nc_u32_e32 v4, 0x1c0, v33
	v_add_co_u32 v34, vcc_lo, v58, v34
	v_add_co_ci_u32_e32 v35, vcc_lo, v59, v35, vcc_lo
	v_lshlrev_b64 v[40:41], 2, v[4:5]
	v_add_nc_u32_e32 v4, 0x230, v33
	v_add_co_u32 v36, vcc_lo, v58, v36
	v_add_co_ci_u32_e32 v37, vcc_lo, v59, v37, vcc_lo
	s_delay_alu instid0(VALU_DEP_3) | instskip(SKIP_4) | instid1(VALU_DEP_4)
	v_lshlrev_b64 v[42:43], 2, v[4:5]
	v_add_nc_u32_e32 v4, 0x2a0, v33
	v_add_co_u32 v38, vcc_lo, v58, v38
	v_add_co_ci_u32_e32 v39, vcc_lo, v59, v39, vcc_lo
	v_add_co_u32 v40, vcc_lo, v58, v40
	v_lshlrev_b64 v[4:5], 2, v[4:5]
	v_add_co_ci_u32_e32 v41, vcc_lo, v59, v41, vcc_lo
	v_add_co_u32 v42, vcc_lo, v58, v42
	v_add_co_ci_u32_e32 v43, vcc_lo, v59, v43, vcc_lo
	s_delay_alu instid0(VALU_DEP_4)
	v_add_co_u32 v4, vcc_lo, v58, v4
	v_add_co_ci_u32_e32 v5, vcc_lo, v59, v5, vcc_lo
	s_waitcnt vmcnt(3)
	v_lshrrev_b32_e32 v7, 16, v21
	v_lshrrev_b32_e32 v33, 16, v22
	;; [unrolled: 1-line block ×4, first 2 shown]
	s_waitcnt vmcnt(2)
	v_lshrrev_b32_e32 v60, 16, v29
	v_lshrrev_b32_e32 v61, 16, v30
	s_waitcnt lgkmcnt(7)
	v_mul_f16_e32 v62, v30, v50
	v_mul_f16_e32 v63, v23, v44
	s_waitcnt lgkmcnt(3)
	v_mul_f16_e32 v64, v24, v54
	v_mul_f16_e32 v65, v29, v52
	;; [unrolled: 1-line block ×3, first 2 shown]
	s_waitcnt vmcnt(1)
	v_lshrrev_b32_e32 v67, 16, v25
	v_lshrrev_b32_e32 v68, 16, v26
	;; [unrolled: 1-line block ×4, first 2 shown]
	s_waitcnt vmcnt(0)
	v_lshrrev_b32_e32 v71, 16, v31
	v_lshrrev_b32_e32 v72, 16, v32
	v_mul_f16_e32 v73, v48, v7
	v_mul_f16_e32 v50, v61, v50
	;; [unrolled: 1-line block ×6, first 2 shown]
	v_fmac_f16_e32 v62, v19, v61
	v_mul_f16_e32 v7, v17, v7
	v_fmac_f16_e32 v63, v14, v58
	v_fmac_f16_e32 v64, v20, v59
	;; [unrolled: 1-line block ×4, first 2 shown]
	v_mul_f16_e32 v33, v49, v67
	v_mul_f16_e32 v58, v51, v72
	s_waitcnt lgkmcnt(2)
	v_mul_f16_e32 v59, v55, v70
	v_mul_f16_e32 v60, v45, v69
	;; [unrolled: 1-line block ×10, first 2 shown]
	v_fma_f16 v17, v17, v21, -v73
	v_fma_f16 v19, v19, v30, -v50
	;; [unrolled: 1-line block ×6, first 2 shown]
	v_fmac_f16_e32 v7, v21, v48
	v_sub_f16_e32 v23, v64, v63
	v_sub_f16_e32 v24, v66, v65
	v_fma_f16 v12, v12, v25, -v33
	v_fma_f16 v15, v15, v32, -v58
	;; [unrolled: 1-line block ×6, first 2 shown]
	v_fmac_f16_e32 v72, v32, v51
	v_fmac_f16_e32 v67, v25, v49
	;; [unrolled: 1-line block ×4, first 2 shown]
	v_add_f16_e32 v21, v64, v63
	v_add_f16_e32 v22, v66, v65
	v_fmac_f16_e32 v69, v27, v45
	v_fmac_f16_e32 v70, v28, v55
	v_sub_f16_e32 v25, v17, v19
	v_sub_f16_e32 v26, v20, v14
	;; [unrolled: 1-line block ×3, first 2 shown]
	v_add_f16_e32 v28, v7, v62
	v_add_f16_e32 v17, v17, v19
	;; [unrolled: 1-line block ×4, first 2 shown]
	v_sub_f16_e32 v7, v7, v62
	v_add_f16_e32 v19, v23, v24
	v_sub_f16_e32 v20, v12, v15
	v_sub_f16_e32 v30, v9, v10
	v_add_f16_e32 v32, v67, v72
	v_add_f16_e32 v44, v68, v71
	;; [unrolled: 1-line block ×5, first 2 shown]
	v_sub_f16_e32 v29, v21, v22
	v_sub_f16_e32 v18, v23, v24
	v_sub_f16_e32 v31, v11, v13
	v_add_f16_e32 v33, v70, v69
	v_sub_f16_e32 v11, v67, v72
	v_sub_f16_e32 v13, v70, v69
	;; [unrolled: 1-line block ×5, first 2 shown]
	v_add_f16_e32 v26, v26, v27
	v_sub_f16_e32 v47, v28, v21
	v_add_f16_e32 v48, v28, v22
	v_sub_f16_e32 v49, v17, v14
	;; [unrolled: 2-line block ×4, first 2 shown]
	v_add_f16_e32 v53, v32, v44
	v_add_f16_e32 v58, v12, v10
	v_mul_f16_e32 v29, 0x2b26, v29
	v_sub_f16_e32 v50, v14, v16
	v_mul_f16_e32 v18, 0xb846, v18
	v_sub_f16_e32 v27, v27, v25
	v_sub_f16_e32 v22, v22, v28
	;; [unrolled: 1-line block ×5, first 2 shown]
	v_add_f16_e32 v28, v30, v31
	v_sub_f16_e32 v30, v32, v33
	v_sub_f16_e32 v52, v33, v44
	;; [unrolled: 1-line block ×6, first 2 shown]
	v_add_f16_e32 v13, v13, v15
	v_sub_f16_e32 v31, v31, v20
	v_sub_f16_e32 v10, v10, v12
	;; [unrolled: 1-line block ×3, first 2 shown]
	v_mul_f16_e32 v15, 0xb846, v46
	v_add_f16_e32 v25, v25, v26
	v_mul_f16_e32 v26, 0x3a52, v47
	v_add_f16_e32 v21, v21, v48
	;; [unrolled: 2-line block ×4, first 2 shown]
	v_add_f16_e32 v9, v9, v58
	v_sub_f16_e32 v32, v44, v32
	v_fmamk_f16 v44, v47, 0x3a52, v29
	v_mul_f16_e32 v47, 0x2b26, v50
	v_fmamk_f16 v48, v23, 0x3574, v18
	v_mul_f16_e32 v50, 0x3b00, v27
	v_fma_f16 v29, v22, 0x39e0, -v29
	v_fma_f16 v7, v7, 0x3b00, -v18
	v_mul_f16_e32 v18, 0xb846, v24
	v_add_f16_e32 v20, v20, v28
	v_mul_f16_e32 v24, 0x3a52, v30
	v_mul_f16_e32 v28, 0x2b26, v52
	;; [unrolled: 1-line block ×4, first 2 shown]
	v_add_f16_e32 v11, v11, v13
	v_mul_f16_e32 v13, 0x3b00, v31
	v_mul_f16_e32 v58, 0x3b00, v12
	s_waitcnt lgkmcnt(1)
	v_add_f16_e32 v56, v56, v21
	v_add_f16_e32 v8, v8, v14
	v_fma_f16 v22, v22, 0xb9e0, -v26
	v_fma_f16 v26, v16, 0xb9e0, -v46
	;; [unrolled: 1-line block ×3, first 2 shown]
	s_waitcnt lgkmcnt(0)
	v_add_f16_e32 v46, v57, v33
	v_add_f16_e32 v6, v6, v9
	v_mul_f16_e32 v52, 0x3a52, v54
	v_fmamk_f16 v60, v45, 0x3574, v15
	v_fmamk_f16 v49, v49, 0x3a52, v47
	v_fmac_f16_e32 v48, 0x370e, v19
	v_fma_f16 v45, v45, 0xb574, -v50
	v_fma_f16 v15, v27, 0x3b00, -v15
	v_fmac_f16_e32 v7, 0x370e, v19
	v_fma_f16 v16, v16, 0x39e0, -v47
	v_fmamk_f16 v27, v17, 0x3574, v18
	v_fmamk_f16 v30, v30, 0x3a52, v28
	;; [unrolled: 1-line block ×4, first 2 shown]
	v_fma_f16 v13, v17, 0xb574, -v13
	v_fma_f16 v17, v32, 0xb9e0, -v24
	;; [unrolled: 1-line block ×5, first 2 shown]
	v_fmamk_f16 v21, v21, 0xbcab, v56
	v_fmamk_f16 v14, v14, 0xbcab, v8
	v_fmac_f16_e32 v23, 0x370e, v19
	v_fmamk_f16 v19, v33, 0xbcab, v46
	v_fmamk_f16 v9, v9, 0xbcab, v6
	v_fma_f16 v24, v10, 0xb9e0, -v52
	v_fma_f16 v28, v32, 0x39e0, -v28
	;; [unrolled: 1-line block ×3, first 2 shown]
	v_fmac_f16_e32 v60, 0x370e, v25
	v_fmac_f16_e32 v45, 0x370e, v25
	;; [unrolled: 1-line block ×9, first 2 shown]
	v_add_f16_e32 v11, v44, v21
	v_add_f16_e32 v20, v49, v14
	;; [unrolled: 1-line block ×13, first 2 shown]
	v_sub_f16_e32 v30, v25, v23
	v_sub_f16_e32 v31, v21, v15
	v_add_f16_e32 v32, v7, v14
	v_add_f16_e32 v15, v15, v21
	v_sub_f16_e32 v7, v14, v7
	v_sub_f16_e32 v14, v22, v45
	v_add_f16_e32 v21, v23, v25
	v_add_f16_e32 v22, v27, v16
	;; [unrolled: 1-line block ×3, first 2 shown]
	v_sub_f16_e32 v13, v17, v13
	v_sub_f16_e32 v16, v16, v27
	v_add_f16_e32 v17, v50, v26
	v_sub_f16_e32 v33, v19, v18
	v_add_f16_e32 v18, v18, v19
	v_add_f16_e32 v19, v51, v24
	v_sub_f16_e32 v23, v26, v50
	v_sub_f16_e32 v26, v9, v12
	v_add_f16_e32 v9, v12, v9
	v_pack_b32_f16 v6, v6, v46
	v_add_f16_e32 v10, v60, v11
	v_sub_f16_e32 v28, v20, v48
	v_sub_f16_e32 v11, v11, v60
	v_add_f16_e32 v20, v48, v20
	v_sub_f16_e32 v12, v24, v51
	v_pack_b32_f16 v16, v17, v16
	v_pack_b32_f16 v13, v19, v13
	;; [unrolled: 1-line block ×13, first 2 shown]
	s_clause 0xd
	global_store_b32 v[2:3], v6, off
	global_store_b32 v[2:3], v16, off offset:448
	global_store_b32 v[2:3], v13, off offset:896
	;; [unrolled: 1-line block ×6, first 2 shown]
	global_store_b32 v[0:1], v8, off
	global_store_b32 v[34:35], v11, off
	;; [unrolled: 1-line block ×7, first 2 shown]
.LBB0_15:
	s_nop 0
	s_sendmsg sendmsg(MSG_DEALLOC_VGPRS)
	s_endpgm
	.section	.rodata,"a",@progbits
	.p2align	6, 0x0
	.amdhsa_kernel fft_rtc_fwd_len784_factors_2_2_2_2_7_7_wgs_56_tpt_56_halfLds_half_op_CI_CI_unitstride_sbrr_dirReg
		.amdhsa_group_segment_fixed_size 0
		.amdhsa_private_segment_fixed_size 0
		.amdhsa_kernarg_size 104
		.amdhsa_user_sgpr_count 15
		.amdhsa_user_sgpr_dispatch_ptr 0
		.amdhsa_user_sgpr_queue_ptr 0
		.amdhsa_user_sgpr_kernarg_segment_ptr 1
		.amdhsa_user_sgpr_dispatch_id 0
		.amdhsa_user_sgpr_private_segment_size 0
		.amdhsa_wavefront_size32 1
		.amdhsa_uses_dynamic_stack 0
		.amdhsa_enable_private_segment 0
		.amdhsa_system_sgpr_workgroup_id_x 1
		.amdhsa_system_sgpr_workgroup_id_y 0
		.amdhsa_system_sgpr_workgroup_id_z 0
		.amdhsa_system_sgpr_workgroup_info 0
		.amdhsa_system_vgpr_workitem_id 0
		.amdhsa_next_free_vgpr 75
		.amdhsa_next_free_sgpr 27
		.amdhsa_reserve_vcc 1
		.amdhsa_float_round_mode_32 0
		.amdhsa_float_round_mode_16_64 0
		.amdhsa_float_denorm_mode_32 3
		.amdhsa_float_denorm_mode_16_64 3
		.amdhsa_dx10_clamp 1
		.amdhsa_ieee_mode 1
		.amdhsa_fp16_overflow 0
		.amdhsa_workgroup_processor_mode 1
		.amdhsa_memory_ordered 1
		.amdhsa_forward_progress 0
		.amdhsa_shared_vgpr_count 0
		.amdhsa_exception_fp_ieee_invalid_op 0
		.amdhsa_exception_fp_denorm_src 0
		.amdhsa_exception_fp_ieee_div_zero 0
		.amdhsa_exception_fp_ieee_overflow 0
		.amdhsa_exception_fp_ieee_underflow 0
		.amdhsa_exception_fp_ieee_inexact 0
		.amdhsa_exception_int_div_zero 0
	.end_amdhsa_kernel
	.text
.Lfunc_end0:
	.size	fft_rtc_fwd_len784_factors_2_2_2_2_7_7_wgs_56_tpt_56_halfLds_half_op_CI_CI_unitstride_sbrr_dirReg, .Lfunc_end0-fft_rtc_fwd_len784_factors_2_2_2_2_7_7_wgs_56_tpt_56_halfLds_half_op_CI_CI_unitstride_sbrr_dirReg
                                        ; -- End function
	.section	.AMDGPU.csdata,"",@progbits
; Kernel info:
; codeLenInByte = 9340
; NumSgprs: 29
; NumVgprs: 75
; ScratchSize: 0
; MemoryBound: 0
; FloatMode: 240
; IeeeMode: 1
; LDSByteSize: 0 bytes/workgroup (compile time only)
; SGPRBlocks: 3
; VGPRBlocks: 9
; NumSGPRsForWavesPerEU: 29
; NumVGPRsForWavesPerEU: 75
; Occupancy: 16
; WaveLimiterHint : 1
; COMPUTE_PGM_RSRC2:SCRATCH_EN: 0
; COMPUTE_PGM_RSRC2:USER_SGPR: 15
; COMPUTE_PGM_RSRC2:TRAP_HANDLER: 0
; COMPUTE_PGM_RSRC2:TGID_X_EN: 1
; COMPUTE_PGM_RSRC2:TGID_Y_EN: 0
; COMPUTE_PGM_RSRC2:TGID_Z_EN: 0
; COMPUTE_PGM_RSRC2:TIDIG_COMP_CNT: 0
	.text
	.p2alignl 7, 3214868480
	.fill 96, 4, 3214868480
	.type	__hip_cuid_afbeefc6d016cc0a,@object ; @__hip_cuid_afbeefc6d016cc0a
	.section	.bss,"aw",@nobits
	.globl	__hip_cuid_afbeefc6d016cc0a
__hip_cuid_afbeefc6d016cc0a:
	.byte	0                               ; 0x0
	.size	__hip_cuid_afbeefc6d016cc0a, 1

	.ident	"AMD clang version 19.0.0git (https://github.com/RadeonOpenCompute/llvm-project roc-6.4.0 25133 c7fe45cf4b819c5991fe208aaa96edf142730f1d)"
	.section	".note.GNU-stack","",@progbits
	.addrsig
	.addrsig_sym __hip_cuid_afbeefc6d016cc0a
	.amdgpu_metadata
---
amdhsa.kernels:
  - .args:
      - .actual_access:  read_only
        .address_space:  global
        .offset:         0
        .size:           8
        .value_kind:     global_buffer
      - .offset:         8
        .size:           8
        .value_kind:     by_value
      - .actual_access:  read_only
        .address_space:  global
        .offset:         16
        .size:           8
        .value_kind:     global_buffer
      - .actual_access:  read_only
        .address_space:  global
        .offset:         24
        .size:           8
        .value_kind:     global_buffer
      - .actual_access:  read_only
        .address_space:  global
        .offset:         32
        .size:           8
        .value_kind:     global_buffer
      - .offset:         40
        .size:           8
        .value_kind:     by_value
      - .actual_access:  read_only
        .address_space:  global
        .offset:         48
        .size:           8
        .value_kind:     global_buffer
      - .actual_access:  read_only
        .address_space:  global
        .offset:         56
        .size:           8
        .value_kind:     global_buffer
      - .offset:         64
        .size:           4
        .value_kind:     by_value
      - .actual_access:  read_only
        .address_space:  global
        .offset:         72
        .size:           8
        .value_kind:     global_buffer
      - .actual_access:  read_only
        .address_space:  global
        .offset:         80
        .size:           8
        .value_kind:     global_buffer
      - .actual_access:  read_only
        .address_space:  global
        .offset:         88
        .size:           8
        .value_kind:     global_buffer
      - .actual_access:  write_only
        .address_space:  global
        .offset:         96
        .size:           8
        .value_kind:     global_buffer
    .group_segment_fixed_size: 0
    .kernarg_segment_align: 8
    .kernarg_segment_size: 104
    .language:       OpenCL C
    .language_version:
      - 2
      - 0
    .max_flat_workgroup_size: 56
    .name:           fft_rtc_fwd_len784_factors_2_2_2_2_7_7_wgs_56_tpt_56_halfLds_half_op_CI_CI_unitstride_sbrr_dirReg
    .private_segment_fixed_size: 0
    .sgpr_count:     29
    .sgpr_spill_count: 0
    .symbol:         fft_rtc_fwd_len784_factors_2_2_2_2_7_7_wgs_56_tpt_56_halfLds_half_op_CI_CI_unitstride_sbrr_dirReg.kd
    .uniform_work_group_size: 1
    .uses_dynamic_stack: false
    .vgpr_count:     75
    .vgpr_spill_count: 0
    .wavefront_size: 32
    .workgroup_processor_mode: 1
amdhsa.target:   amdgcn-amd-amdhsa--gfx1100
amdhsa.version:
  - 1
  - 2
...

	.end_amdgpu_metadata
